;; amdgpu-corpus repo=ROCm/rocFFT kind=compiled arch=gfx906 opt=O3
	.text
	.amdgcn_target "amdgcn-amd-amdhsa--gfx906"
	.amdhsa_code_object_version 6
	.protected	fft_rtc_back_len768_factors_16_3_16_wgs_48_tpt_48_halfLds_dp_op_CI_CI_sbrr_dirReg ; -- Begin function fft_rtc_back_len768_factors_16_3_16_wgs_48_tpt_48_halfLds_dp_op_CI_CI_sbrr_dirReg
	.globl	fft_rtc_back_len768_factors_16_3_16_wgs_48_tpt_48_halfLds_dp_op_CI_CI_sbrr_dirReg
	.p2align	8
	.type	fft_rtc_back_len768_factors_16_3_16_wgs_48_tpt_48_halfLds_dp_op_CI_CI_sbrr_dirReg,@function
fft_rtc_back_len768_factors_16_3_16_wgs_48_tpt_48_halfLds_dp_op_CI_CI_sbrr_dirReg: ; @fft_rtc_back_len768_factors_16_3_16_wgs_48_tpt_48_halfLds_dp_op_CI_CI_sbrr_dirReg
; %bb.0:
	s_load_dwordx4 s[16:19], s[4:5], 0x18
	s_load_dwordx4 s[12:15], s[4:5], 0x0
	;; [unrolled: 1-line block ×3, first 2 shown]
	v_mul_u32_u24_e32 v1, 0x556, v0
	v_add_u32_sdwa v5, s6, v1 dst_sel:DWORD dst_unused:UNUSED_PAD src0_sel:DWORD src1_sel:WORD_1
	s_waitcnt lgkmcnt(0)
	s_load_dwordx2 s[20:21], s[16:17], 0x0
	s_load_dwordx2 s[2:3], s[18:19], 0x0
	v_cmp_lt_u64_e64 s[0:1], s[14:15], 2
	v_mov_b32_e32 v3, 0
	v_mov_b32_e32 v1, 0
	;; [unrolled: 1-line block ×3, first 2 shown]
	s_and_b64 vcc, exec, s[0:1]
	v_mov_b32_e32 v2, 0
	s_cbranch_vccnz .LBB0_8
; %bb.1:
	s_load_dwordx2 s[0:1], s[4:5], 0x10
	s_add_u32 s6, s18, 8
	s_addc_u32 s7, s19, 0
	s_add_u32 s22, s16, 8
	v_mov_b32_e32 v1, 0
	s_addc_u32 s23, s17, 0
	v_mov_b32_e32 v2, 0
	s_waitcnt lgkmcnt(0)
	s_add_u32 s24, s0, 8
	v_mov_b32_e32 v67, v2
	s_addc_u32 s25, s1, 0
	s_mov_b64 s[26:27], 1
	v_mov_b32_e32 v66, v1
.LBB0_2:                                ; =>This Inner Loop Header: Depth=1
	s_load_dwordx2 s[28:29], s[24:25], 0x0
                                        ; implicit-def: $vgpr68_vgpr69
	s_waitcnt lgkmcnt(0)
	v_or_b32_e32 v4, s29, v6
	v_cmp_ne_u64_e32 vcc, 0, v[3:4]
	s_and_saveexec_b64 s[0:1], vcc
	s_xor_b64 s[30:31], exec, s[0:1]
	s_cbranch_execz .LBB0_4
; %bb.3:                                ;   in Loop: Header=BB0_2 Depth=1
	v_cvt_f32_u32_e32 v4, s28
	v_cvt_f32_u32_e32 v7, s29
	s_sub_u32 s0, 0, s28
	s_subb_u32 s1, 0, s29
	v_mac_f32_e32 v4, 0x4f800000, v7
	v_rcp_f32_e32 v4, v4
	v_mul_f32_e32 v4, 0x5f7ffffc, v4
	v_mul_f32_e32 v7, 0x2f800000, v4
	v_trunc_f32_e32 v7, v7
	v_mac_f32_e32 v4, 0xcf800000, v7
	v_cvt_u32_f32_e32 v7, v7
	v_cvt_u32_f32_e32 v4, v4
	v_mul_lo_u32 v8, s0, v7
	v_mul_hi_u32 v9, s0, v4
	v_mul_lo_u32 v11, s1, v4
	v_mul_lo_u32 v10, s0, v4
	v_add_u32_e32 v8, v9, v8
	v_add_u32_e32 v8, v8, v11
	v_mul_hi_u32 v9, v4, v10
	v_mul_lo_u32 v11, v4, v8
	v_mul_hi_u32 v13, v4, v8
	v_mul_hi_u32 v12, v7, v10
	v_mul_lo_u32 v10, v7, v10
	v_mul_hi_u32 v14, v7, v8
	v_add_co_u32_e32 v9, vcc, v9, v11
	v_addc_co_u32_e32 v11, vcc, 0, v13, vcc
	v_mul_lo_u32 v8, v7, v8
	v_add_co_u32_e32 v9, vcc, v9, v10
	v_addc_co_u32_e32 v9, vcc, v11, v12, vcc
	v_addc_co_u32_e32 v10, vcc, 0, v14, vcc
	v_add_co_u32_e32 v8, vcc, v9, v8
	v_addc_co_u32_e32 v9, vcc, 0, v10, vcc
	v_add_co_u32_e32 v4, vcc, v4, v8
	v_addc_co_u32_e32 v7, vcc, v7, v9, vcc
	v_mul_lo_u32 v8, s0, v7
	v_mul_hi_u32 v9, s0, v4
	v_mul_lo_u32 v10, s1, v4
	v_mul_lo_u32 v11, s0, v4
	v_add_u32_e32 v8, v9, v8
	v_add_u32_e32 v8, v8, v10
	v_mul_lo_u32 v12, v4, v8
	v_mul_hi_u32 v13, v4, v11
	v_mul_hi_u32 v14, v4, v8
	;; [unrolled: 1-line block ×3, first 2 shown]
	v_mul_lo_u32 v11, v7, v11
	v_mul_hi_u32 v9, v7, v8
	v_add_co_u32_e32 v12, vcc, v13, v12
	v_addc_co_u32_e32 v13, vcc, 0, v14, vcc
	v_mul_lo_u32 v8, v7, v8
	v_add_co_u32_e32 v11, vcc, v12, v11
	v_addc_co_u32_e32 v10, vcc, v13, v10, vcc
	v_addc_co_u32_e32 v9, vcc, 0, v9, vcc
	v_add_co_u32_e32 v8, vcc, v10, v8
	v_addc_co_u32_e32 v9, vcc, 0, v9, vcc
	v_add_co_u32_e32 v4, vcc, v4, v8
	v_addc_co_u32_e32 v9, vcc, v7, v9, vcc
	v_mad_u64_u32 v[7:8], s[0:1], v5, v9, 0
	v_mul_hi_u32 v10, v5, v4
	v_add_co_u32_e32 v11, vcc, v10, v7
	v_addc_co_u32_e32 v12, vcc, 0, v8, vcc
	v_mad_u64_u32 v[7:8], s[0:1], v6, v4, 0
	v_mad_u64_u32 v[9:10], s[0:1], v6, v9, 0
	v_add_co_u32_e32 v4, vcc, v11, v7
	v_addc_co_u32_e32 v4, vcc, v12, v8, vcc
	v_addc_co_u32_e32 v7, vcc, 0, v10, vcc
	v_add_co_u32_e32 v4, vcc, v4, v9
	v_addc_co_u32_e32 v9, vcc, 0, v7, vcc
	v_mul_lo_u32 v10, s29, v4
	v_mul_lo_u32 v11, s28, v9
	v_mad_u64_u32 v[7:8], s[0:1], s28, v4, 0
	v_add3_u32 v8, v8, v11, v10
	v_sub_u32_e32 v10, v6, v8
	v_mov_b32_e32 v11, s29
	v_sub_co_u32_e32 v7, vcc, v5, v7
	v_subb_co_u32_e64 v10, s[0:1], v10, v11, vcc
	v_subrev_co_u32_e64 v11, s[0:1], s28, v7
	v_subbrev_co_u32_e64 v10, s[0:1], 0, v10, s[0:1]
	v_cmp_le_u32_e64 s[0:1], s29, v10
	v_cndmask_b32_e64 v12, 0, -1, s[0:1]
	v_cmp_le_u32_e64 s[0:1], s28, v11
	v_cndmask_b32_e64 v11, 0, -1, s[0:1]
	v_cmp_eq_u32_e64 s[0:1], s29, v10
	v_cndmask_b32_e64 v10, v12, v11, s[0:1]
	v_add_co_u32_e64 v11, s[0:1], 2, v4
	v_addc_co_u32_e64 v12, s[0:1], 0, v9, s[0:1]
	v_add_co_u32_e64 v13, s[0:1], 1, v4
	v_addc_co_u32_e64 v14, s[0:1], 0, v9, s[0:1]
	v_subb_co_u32_e32 v8, vcc, v6, v8, vcc
	v_cmp_ne_u32_e64 s[0:1], 0, v10
	v_cmp_le_u32_e32 vcc, s29, v8
	v_cndmask_b32_e64 v10, v14, v12, s[0:1]
	v_cndmask_b32_e64 v12, 0, -1, vcc
	v_cmp_le_u32_e32 vcc, s28, v7
	v_cndmask_b32_e64 v7, 0, -1, vcc
	v_cmp_eq_u32_e32 vcc, s29, v8
	v_cndmask_b32_e32 v7, v12, v7, vcc
	v_cmp_ne_u32_e32 vcc, 0, v7
	v_cndmask_b32_e64 v7, v13, v11, s[0:1]
	v_cndmask_b32_e32 v69, v9, v10, vcc
	v_cndmask_b32_e32 v68, v4, v7, vcc
.LBB0_4:                                ;   in Loop: Header=BB0_2 Depth=1
	s_andn2_saveexec_b64 s[0:1], s[30:31]
	s_cbranch_execz .LBB0_6
; %bb.5:                                ;   in Loop: Header=BB0_2 Depth=1
	v_cvt_f32_u32_e32 v4, s28
	s_sub_i32 s30, 0, s28
	v_mov_b32_e32 v69, v3
	v_rcp_iflag_f32_e32 v4, v4
	v_mul_f32_e32 v4, 0x4f7ffffe, v4
	v_cvt_u32_f32_e32 v4, v4
	v_mul_lo_u32 v7, s30, v4
	v_mul_hi_u32 v7, v4, v7
	v_add_u32_e32 v4, v4, v7
	v_mul_hi_u32 v4, v5, v4
	v_mul_lo_u32 v7, v4, s28
	v_add_u32_e32 v8, 1, v4
	v_sub_u32_e32 v7, v5, v7
	v_subrev_u32_e32 v9, s28, v7
	v_cmp_le_u32_e32 vcc, s28, v7
	v_cndmask_b32_e32 v7, v7, v9, vcc
	v_cndmask_b32_e32 v4, v4, v8, vcc
	v_add_u32_e32 v8, 1, v4
	v_cmp_le_u32_e32 vcc, s28, v7
	v_cndmask_b32_e32 v68, v4, v8, vcc
.LBB0_6:                                ;   in Loop: Header=BB0_2 Depth=1
	s_or_b64 exec, exec, s[0:1]
	v_mul_lo_u32 v4, v69, s28
	v_mul_lo_u32 v9, v68, s29
	v_mad_u64_u32 v[7:8], s[0:1], v68, s28, 0
	s_load_dwordx2 s[0:1], s[22:23], 0x0
	s_load_dwordx2 s[28:29], s[6:7], 0x0
	v_add3_u32 v4, v8, v9, v4
	v_sub_co_u32_e32 v5, vcc, v5, v7
	v_subb_co_u32_e32 v4, vcc, v6, v4, vcc
	s_waitcnt lgkmcnt(0)
	v_mul_lo_u32 v6, s0, v4
	v_mul_lo_u32 v7, s1, v5
	v_mad_u64_u32 v[1:2], s[0:1], s0, v5, v[1:2]
	v_mul_lo_u32 v4, s28, v4
	v_mul_lo_u32 v8, s29, v5
	v_mad_u64_u32 v[66:67], s[0:1], s28, v5, v[66:67]
	s_add_u32 s26, s26, 1
	s_addc_u32 s27, s27, 0
	s_add_u32 s6, s6, 8
	v_add3_u32 v67, v8, v67, v4
	s_addc_u32 s7, s7, 0
	v_mov_b32_e32 v4, s14
	s_add_u32 s22, s22, 8
	v_mov_b32_e32 v5, s15
	s_addc_u32 s23, s23, 0
	v_cmp_ge_u64_e32 vcc, s[26:27], v[4:5]
	s_add_u32 s24, s24, 8
	v_add3_u32 v2, v7, v2, v6
	s_addc_u32 s25, s25, 0
	s_cbranch_vccnz .LBB0_9
; %bb.7:                                ;   in Loop: Header=BB0_2 Depth=1
	v_mov_b32_e32 v5, v68
	v_mov_b32_e32 v6, v69
	s_branch .LBB0_2
.LBB0_8:
	v_mov_b32_e32 v67, v2
	v_mov_b32_e32 v69, v6
	;; [unrolled: 1-line block ×4, first 2 shown]
.LBB0_9:
	s_load_dwordx2 s[0:1], s[4:5], 0x28
	s_lshl_b64 s[14:15], s[14:15], 3
	s_add_u32 s4, s18, s14
	s_addc_u32 s5, s19, s15
                                        ; implicit-def: $sgpr18
                                        ; implicit-def: $vgpr97
                                        ; implicit-def: $vgpr98
                                        ; implicit-def: $vgpr99
                                        ; implicit-def: $vgpr100
                                        ; implicit-def: $vgpr101
                                        ; implicit-def: $vgpr103
	s_waitcnt lgkmcnt(0)
	v_cmp_gt_u64_e32 vcc, s[0:1], v[68:69]
	v_cmp_le_u64_e64 s[0:1], s[0:1], v[68:69]
	s_and_saveexec_b64 s[6:7], s[0:1]
	s_xor_b64 s[0:1], exec, s[6:7]
; %bb.10:
	s_mov_b32 s6, 0x5555556
	v_mul_hi_u32 v1, v0, s6
	s_mov_b32 s18, 0
	v_mul_u32_u24_e32 v1, 48, v1
	v_sub_u32_e32 v97, v0, v1
	v_add_u32_e32 v98, 48, v97
	v_add_u32_e32 v99, 0x60, v97
	;; [unrolled: 1-line block ×3, first 2 shown]
	v_or_b32_e32 v101, 0xc0, v97
	v_add_u32_e32 v103, 0xf0, v97
                                        ; implicit-def: $vgpr0
                                        ; implicit-def: $vgpr1_vgpr2
; %bb.11:
	s_or_saveexec_b64 s[6:7], s[0:1]
	v_mov_b32_e32 v96, s18
                                        ; implicit-def: $vgpr16_vgpr17
                                        ; implicit-def: $vgpr28_vgpr29
                                        ; implicit-def: $vgpr20_vgpr21
                                        ; implicit-def: $vgpr8_vgpr9
                                        ; implicit-def: $vgpr24_vgpr25
                                        ; implicit-def: $vgpr32_vgpr33
                                        ; implicit-def: $vgpr12_vgpr13
                                        ; implicit-def: $vgpr60_vgpr61
                                        ; implicit-def: $vgpr40_vgpr41
                                        ; implicit-def: $vgpr56_vgpr57
                                        ; implicit-def: $vgpr48_vgpr49
                                        ; implicit-def: $vgpr64_vgpr65
                                        ; implicit-def: $vgpr52_vgpr53
                                        ; implicit-def: $vgpr44_vgpr45
                                        ; implicit-def: $vgpr36_vgpr37
                                        ; implicit-def: $vgpr4_vgpr5
	s_xor_b64 exec, exec, s[6:7]
	s_cbranch_execz .LBB0_13
; %bb.12:
	s_add_u32 s0, s16, s14
	s_mov_b32 s14, 0x5555556
	v_mul_hi_u32 v3, v0, s14
	s_addc_u32 s1, s17, s15
	s_load_dwordx2 s[0:1], s[0:1], 0x0
	v_mul_u32_u24_e32 v3, 48, v3
	v_sub_u32_e32 v97, v0, v3
	v_mad_u64_u32 v[3:4], s[14:15], s20, v97, 0
	s_waitcnt lgkmcnt(0)
	v_mul_lo_u32 v9, s1, v68
	v_mul_lo_u32 v10, s0, v69
	v_mad_u64_u32 v[5:6], s[0:1], s0, v68, 0
	v_mov_b32_e32 v0, v4
	v_mad_u64_u32 v[7:8], s[0:1], s21, v97, v[0:1]
	v_add3_u32 v6, v6, v10, v9
	v_lshlrev_b64 v[5:6], 4, v[5:6]
	v_mov_b32_e32 v4, v7
	v_mov_b32_e32 v0, s9
	v_add_co_u32_e64 v7, s[0:1], s8, v5
	v_add_u32_e32 v98, 48, v97
	v_addc_co_u32_e64 v8, s[0:1], v0, v6, s[0:1]
	v_mad_u64_u32 v[5:6], s[0:1], s20, v98, 0
	v_lshlrev_b64 v[0:1], 4, v[1:2]
	v_add_u32_e32 v99, 0x60, v97
	v_add_co_u32_e64 v10, s[0:1], v7, v0
	v_mov_b32_e32 v2, v6
	v_addc_co_u32_e64 v11, s[0:1], v8, v1, s[0:1]
	v_lshlrev_b64 v[0:1], 4, v[3:4]
	v_mad_u64_u32 v[2:3], s[0:1], s21, v98, v[2:3]
	v_mad_u64_u32 v[3:4], s[0:1], s20, v99, 0
	v_add_co_u32_e64 v0, s[0:1], v10, v0
	v_mov_b32_e32 v6, v2
	v_mov_b32_e32 v2, v4
	v_addc_co_u32_e64 v1, s[0:1], v11, v1, s[0:1]
	v_mad_u64_u32 v[7:8], s[0:1], s21, v99, v[2:3]
	v_add_u32_e32 v100, 0x90, v97
	v_mad_u64_u32 v[8:9], s[0:1], s20, v100, 0
	v_lshlrev_b64 v[5:6], 4, v[5:6]
	v_mov_b32_e32 v4, v7
	v_add_co_u32_e64 v50, s[0:1], v10, v5
	v_lshlrev_b64 v[2:3], 4, v[3:4]
	v_mov_b32_e32 v4, v9
	v_addc_co_u32_e64 v51, s[0:1], v11, v6, s[0:1]
	v_mad_u64_u32 v[4:5], s[0:1], s21, v100, v[4:5]
	v_or_b32_e32 v101, 0xc0, v97
	v_mad_u64_u32 v[5:6], s[0:1], s20, v101, 0
	v_add_co_u32_e64 v52, s[0:1], v10, v2
	v_mov_b32_e32 v9, v4
	v_mov_b32_e32 v4, v6
	v_addc_co_u32_e64 v53, s[0:1], v11, v3, s[0:1]
	v_mad_u64_u32 v[6:7], s[0:1], s21, v101, v[4:5]
	v_add_u32_e32 v103, 0xf0, v97
	v_lshlrev_b64 v[2:3], 4, v[8:9]
	v_mad_u64_u32 v[7:8], s[0:1], s20, v103, 0
	v_add_co_u32_e64 v70, s[0:1], v10, v2
	v_mov_b32_e32 v4, v8
	v_addc_co_u32_e64 v71, s[0:1], v11, v3, s[0:1]
	v_lshlrev_b64 v[2:3], 4, v[5:6]
	v_mad_u64_u32 v[4:5], s[0:1], s21, v103, v[4:5]
	v_add_u32_e32 v9, 0x120, v97
	v_mad_u64_u32 v[5:6], s[0:1], s20, v9, 0
	v_add_co_u32_e64 v72, s[0:1], v10, v2
	v_mov_b32_e32 v8, v4
	v_mov_b32_e32 v4, v6
	v_addc_co_u32_e64 v73, s[0:1], v11, v3, s[0:1]
	v_lshlrev_b64 v[2:3], 4, v[7:8]
	v_mad_u64_u32 v[6:7], s[0:1], s21, v9, v[4:5]
	v_add_u32_e32 v9, 0x150, v97
	v_mad_u64_u32 v[7:8], s[0:1], s20, v9, 0
	v_add_co_u32_e64 v74, s[0:1], v10, v2
	v_mov_b32_e32 v4, v8
	v_addc_co_u32_e64 v75, s[0:1], v11, v3, s[0:1]
	v_lshlrev_b64 v[2:3], 4, v[5:6]
	v_mad_u64_u32 v[4:5], s[0:1], s21, v9, v[4:5]
	v_or_b32_e32 v9, 0x180, v97
	v_mad_u64_u32 v[5:6], s[0:1], s20, v9, 0
	v_add_co_u32_e64 v76, s[0:1], v10, v2
	v_mov_b32_e32 v8, v4
	v_mov_b32_e32 v4, v6
	v_addc_co_u32_e64 v77, s[0:1], v11, v3, s[0:1]
	v_lshlrev_b64 v[2:3], 4, v[7:8]
	v_mad_u64_u32 v[6:7], s[0:1], s21, v9, v[4:5]
	v_add_u32_e32 v9, 0x1b0, v97
	v_mad_u64_u32 v[7:8], s[0:1], s20, v9, 0
	v_add_co_u32_e64 v78, s[0:1], v10, v2
	v_mov_b32_e32 v4, v8
	v_addc_co_u32_e64 v79, s[0:1], v11, v3, s[0:1]
	v_lshlrev_b64 v[2:3], 4, v[5:6]
	v_mad_u64_u32 v[4:5], s[0:1], s21, v9, v[4:5]
	v_add_u32_e32 v9, 0x1e0, v97
	v_mad_u64_u32 v[5:6], s[0:1], s20, v9, 0
	v_add_co_u32_e64 v80, s[0:1], v10, v2
	v_mov_b32_e32 v8, v4
	v_mov_b32_e32 v4, v6
	v_addc_co_u32_e64 v81, s[0:1], v11, v3, s[0:1]
	v_lshlrev_b64 v[2:3], 4, v[7:8]
	v_mad_u64_u32 v[6:7], s[0:1], s21, v9, v[4:5]
	v_add_u32_e32 v9, 0x210, v97
	v_mad_u64_u32 v[7:8], s[0:1], s20, v9, 0
	v_add_co_u32_e64 v82, s[0:1], v10, v2
	v_mov_b32_e32 v4, v8
	v_addc_co_u32_e64 v83, s[0:1], v11, v3, s[0:1]
	v_lshlrev_b64 v[2:3], 4, v[5:6]
	v_mad_u64_u32 v[4:5], s[0:1], s21, v9, v[4:5]
	v_or_b32_e32 v9, 0x240, v97
	v_mad_u64_u32 v[5:6], s[0:1], s20, v9, 0
	v_add_co_u32_e64 v84, s[0:1], v10, v2
	v_mov_b32_e32 v8, v4
	v_mov_b32_e32 v4, v6
	v_addc_co_u32_e64 v85, s[0:1], v11, v3, s[0:1]
	v_lshlrev_b64 v[2:3], 4, v[7:8]
	v_mad_u64_u32 v[6:7], s[0:1], s21, v9, v[4:5]
	v_add_u32_e32 v9, 0x270, v97
	v_mad_u64_u32 v[7:8], s[0:1], s20, v9, 0
	v_add_co_u32_e64 v86, s[0:1], v10, v2
	v_mov_b32_e32 v4, v8
	v_addc_co_u32_e64 v87, s[0:1], v11, v3, s[0:1]
	v_lshlrev_b64 v[2:3], 4, v[5:6]
	v_mad_u64_u32 v[4:5], s[0:1], s21, v9, v[4:5]
	v_add_u32_e32 v9, 0x2a0, v97
	v_mad_u64_u32 v[5:6], s[0:1], s20, v9, 0
	v_add_co_u32_e64 v88, s[0:1], v10, v2
	v_mov_b32_e32 v8, v4
	v_mov_b32_e32 v4, v6
	v_addc_co_u32_e64 v89, s[0:1], v11, v3, s[0:1]
	v_lshlrev_b64 v[2:3], 4, v[7:8]
	v_mad_u64_u32 v[6:7], s[0:1], s21, v9, v[4:5]
	v_add_u32_e32 v9, 0x2d0, v97
	v_mad_u64_u32 v[7:8], s[0:1], s20, v9, 0
	v_add_co_u32_e64 v90, s[0:1], v10, v2
	v_mov_b32_e32 v4, v8
	v_addc_co_u32_e64 v91, s[0:1], v11, v3, s[0:1]
	v_lshlrev_b64 v[2:3], 4, v[5:6]
	v_mad_u64_u32 v[4:5], s[0:1], s21, v9, v[4:5]
	v_add_co_u32_e64 v92, s[0:1], v10, v2
	v_mov_b32_e32 v8, v4
	v_addc_co_u32_e64 v93, s[0:1], v11, v3, s[0:1]
	v_lshlrev_b64 v[2:3], 4, v[7:8]
	v_mov_b32_e32 v96, v97
	v_add_co_u32_e64 v94, s[0:1], v10, v2
	v_addc_co_u32_e64 v95, s[0:1], v11, v3, s[0:1]
	global_load_dwordx4 v[2:5], v[0:1], off
	global_load_dwordx4 v[14:17], v[50:51], off
	;; [unrolled: 1-line block ×15, first 2 shown]
                                        ; kill: killed $vgpr50 killed $vgpr51
                                        ; kill: killed $vgpr78 killed $vgpr79
                                        ; kill: killed $vgpr72 killed $vgpr73
                                        ; kill: killed $vgpr80 killed $vgpr81
                                        ; kill: killed $vgpr82 killed $vgpr83
                                        ; kill: killed $vgpr70 killed $vgpr71
                                        ; kill: killed $vgpr84 killed $vgpr85
                                        ; kill: killed $vgpr86 killed $vgpr87
                                        ; kill: killed $vgpr88 killed $vgpr89
                                        ; kill: killed $vgpr52 killed $vgpr53
                                        ; kill: killed $vgpr0 killed $vgpr1
                                        ; kill: killed $vgpr90 killed $vgpr91
                                        ; kill: killed $vgpr74 killed $vgpr75
                                        ; kill: killed $vgpr92 killed $vgpr93
                                        ; kill: killed $vgpr76 killed $vgpr77
	global_load_dwordx4 v[50:53], v[94:95], off
.LBB0_13:
	s_or_b64 exec, exec, s[6:7]
	s_waitcnt vmcnt(5)
	v_add_f64 v[0:1], v[26:27], -v[58:59]
	v_add_f64 v[58:59], v[28:29], -v[60:61]
	s_waitcnt vmcnt(1)
	v_add_f64 v[60:61], v[34:35], -v[62:63]
	v_add_f64 v[62:63], v[36:37], -v[64:65]
	;; [unrolled: 1-line block ×5, first 2 shown]
	s_waitcnt vmcnt(0)
	v_add_f64 v[52:53], v[32:33], -v[52:53]
	v_add_f64 v[48:49], v[24:25], -v[48:49]
	;; [unrolled: 1-line block ×6, first 2 shown]
	v_fma_f64 v[26:27], v[26:27], 2.0, -v[0:1]
	v_fma_f64 v[34:35], v[34:35], 2.0, -v[60:61]
	v_add_f64 v[40:41], v[20:21], -v[40:41]
	v_add_f64 v[44:45], v[16:17], -v[44:45]
	v_add_f64 v[70:71], v[48:49], v[42:43]
	v_add_f64 v[72:73], v[38:39], v[52:53]
	v_fma_f64 v[14:15], v[14:15], 2.0, -v[42:43]
	v_fma_f64 v[30:31], v[30:31], 2.0, -v[50:51]
	v_fma_f64 v[22:23], v[22:23], 2.0, -v[46:47]
	v_fma_f64 v[18:19], v[18:19], 2.0, -v[38:39]
	v_fma_f64 v[2:3], v[2:3], 2.0, -v[10:11]
	v_fma_f64 v[6:7], v[6:7], 2.0, -v[54:55]
	v_add_f64 v[78:79], v[56:57], v[10:11]
	v_add_f64 v[80:81], v[0:1], v[62:63]
	v_add_f64 v[50:51], v[40:41], -v[50:51]
	v_fma_f64 v[64:65], v[42:43], 2.0, -v[70:71]
	v_fma_f64 v[74:75], v[38:39], 2.0, -v[72:73]
	v_add_f64 v[76:77], v[44:45], -v[46:47]
	v_add_f64 v[94:95], v[58:59], -v[60:61]
	;; [unrolled: 1-line block ×3, first 2 shown]
	v_fma_f64 v[84:85], v[10:11], 2.0, -v[78:79]
	v_fma_f64 v[88:89], v[0:1], 2.0, -v[80:81]
	v_add_f64 v[42:43], v[26:27], -v[34:35]
	v_add_f64 v[0:1], v[14:15], -v[22:23]
	;; [unrolled: 1-line block ×3, first 2 shown]
	s_mov_b32 s0, 0x667f3bcd
	s_mov_b32 s1, 0x3fe6a09e
	;; [unrolled: 1-line block ×4, first 2 shown]
	v_fma_f64 v[38:39], v[40:41], 2.0, -v[50:51]
	v_fma_f64 v[6:7], v[74:75], s[18:19], v[64:65]
	v_fma_f64 v[30:31], v[44:45], 2.0, -v[76:77]
	v_fma_f64 v[2:3], v[2:3], 2.0, -v[82:83]
	;; [unrolled: 1-line block ×3, first 2 shown]
	v_fma_f64 v[10:11], v[88:89], s[18:19], v[84:85]
	v_fma_f64 v[26:27], v[26:27], 2.0, -v[42:43]
	v_fma_f64 v[14:15], v[14:15], 2.0, -v[0:1]
	;; [unrolled: 1-line block ×5, first 2 shown]
	v_fma_f64 v[34:35], v[38:39], s[18:19], v[30:31]
	v_fma_f64 v[20:21], v[20:21], 2.0, -v[40:41]
	v_fma_f64 v[36:37], v[90:91], s[0:1], v[10:11]
	v_fma_f64 v[10:11], v[38:39], s[0:1], v[6:7]
	v_add_f64 v[60:61], v[2:3], -v[26:27]
	v_add_f64 v[38:39], v[14:15], -v[18:19]
	v_fma_f64 v[18:19], v[32:33], 2.0, -v[52:53]
	v_fma_f64 v[16:17], v[16:17], 2.0, -v[44:45]
	;; [unrolled: 1-line block ×3, first 2 shown]
	v_fma_f64 v[6:7], v[74:75], s[18:19], v[34:35]
	v_fma_f64 v[32:33], v[84:85], 2.0, -v[36:37]
	v_fma_f64 v[40:41], v[64:65], 2.0, -v[10:11]
	;; [unrolled: 1-line block ×4, first 2 shown]
	v_fma_f64 v[14:15], v[72:73], s[0:1], v[70:71]
	v_add_f64 v[64:65], v[46:47], -v[28:29]
	v_fma_f64 v[28:29], v[80:81], s[0:1], v[78:79]
	v_add_f64 v[18:19], v[20:21], -v[18:19]
	v_fma_f64 v[44:45], v[30:31], 2.0, -v[6:7]
	v_fma_f64 v[30:31], v[50:51], s[0:1], v[76:77]
	s_mov_b32 s6, 0xcf328d46
	s_mov_b32 s7, 0xbfed906b
	v_fma_f64 v[48:49], v[50:51], s[0:1], v[14:15]
	v_add_f64 v[62:63], v[64:65], v[82:83]
	v_fma_f64 v[74:75], v[94:95], s[0:1], v[28:29]
	v_add_f64 v[14:15], v[16:17], -v[24:25]
	v_add_f64 v[104:105], v[18:19], v[0:1]
	v_fma_f64 v[52:53], v[72:73], s[18:19], v[30:31]
	s_mov_b32 s8, 0xa6aea964
	s_mov_b32 s9, 0x3fd87de2
	v_fma_f64 v[50:51], v[70:71], 2.0, -v[48:49]
	v_fma_f64 v[30:31], v[82:83], 2.0, -v[62:63]
	;; [unrolled: 1-line block ×3, first 2 shown]
	v_add_f64 v[72:73], v[14:15], -v[22:23]
	v_fma_f64 v[78:79], v[0:1], 2.0, -v[104:105]
	v_fma_f64 v[84:85], v[16:17], 2.0, -v[14:15]
	v_fma_f64 v[0:1], v[20:21], 2.0, -v[18:19]
	v_fma_f64 v[24:25], v[40:41], s[6:7], v[32:33]
	s_mov_b32 s15, 0xbfd87de2
	s_mov_b32 s14, s8
	v_fma_f64 v[58:59], v[76:77], 2.0, -v[52:53]
	v_fma_f64 v[70:71], v[14:15], 2.0, -v[72:73]
	v_fma_f64 v[18:19], v[78:79], s[18:19], v[30:31]
	v_fma_f64 v[20:21], v[50:51], s[14:15], v[34:35]
	s_mov_b32 s17, 0x3fed906b
	s_mov_b32 s16, s6
	v_add_f64 v[86:87], v[84:85], -v[0:1]
	v_fma_f64 v[0:1], v[10:11], s[8:9], v[36:37]
	v_fma_f64 v[28:29], v[104:105], s[0:1], v[62:63]
	;; [unrolled: 1-line block ×3, first 2 shown]
	v_add_f64 v[14:15], v[26:27], -v[2:3]
	v_fma_f64 v[16:17], v[44:45], s[8:9], v[24:25]
	v_fma_f64 v[18:19], v[70:71], s[0:1], v[18:19]
	;; [unrolled: 1-line block ×3, first 2 shown]
	v_add_f64 v[22:23], v[86:87], v[60:61]
	v_fma_f64 v[24:25], v[6:7], s[16:17], v[0:1]
	v_fma_f64 v[0:1], v[72:73], s[0:1], v[28:29]
	;; [unrolled: 1-line block ×3, first 2 shown]
	v_fma_f64 v[26:27], v[26:27], 2.0, -v[14:15]
	v_fma_f64 v[28:29], v[32:33], 2.0, -v[16:17]
	;; [unrolled: 1-line block ×8, first 2 shown]
	v_lshl_add_u32 v108, v97, 7, 0
	ds_write_b128 v108, v[26:29]
	ds_write_b128 v108, v[30:33] offset:16
	ds_write_b128 v108, v[34:37] offset:32
	;; [unrolled: 1-line block ×6, first 2 shown]
	v_mul_f64 v[88:89], v[88:89], s[0:1]
	v_mul_f64 v[92:93], v[90:91], s[0:1]
	;; [unrolled: 1-line block ×8, first 2 shown]
	s_movk_i32 s0, 0xff88
	ds_write_b128 v108, v[0:3] offset:112
	v_mad_i32_i24 v0, v97, s0, v108
	v_lshl_add_u32 v104, v98, 3, 0
	s_load_dwordx2 s[4:5], s[4:5], 0x0
	s_waitcnt lgkmcnt(0)
	; wave barrier
	s_waitcnt lgkmcnt(0)
	v_add_u32_e32 v1, 0x1000, v0
	v_add_u32_e32 v18, 0x800, v0
	v_lshl_add_u32 v105, v99, 3, 0
	v_lshl_add_u32 v106, v100, 3, 0
	;; [unrolled: 1-line block ×3, first 2 shown]
	ds_read_b64 v[80:81], v104
	ds_read_b64 v[78:79], v105
	;; [unrolled: 1-line block ×4, first 2 shown]
	ds_read_b64 v[82:83], v0 offset:5632
	ds_read2st64_b64 v[14:17], v0 offset1:4
	ds_read2_b64 v[34:37], v1 offset1:48
	ds_read2_b64 v[26:29], v1 offset0:96 offset1:144
	ds_read2_b64 v[30:33], v18 offset0:48 offset1:96
	;; [unrolled: 1-line block ×3, first 2 shown]
	v_mul_i32_i24_e32 v0, 0xffffff88, v97
	v_cmp_gt_u32_e64 s[0:1], 16, v97
	v_add_u32_e32 v102, v108, v0
	v_lshl_add_u32 v103, v103, 3, 0
                                        ; implicit-def: $vgpr20_vgpr21
	s_and_saveexec_b64 s[18:19], s[0:1]
	s_cbranch_execz .LBB0_15
; %bb.14:
	v_add_u32_e32 v0, 0x180, v102
	ds_read_b64 v[2:3], v103
	ds_read2st64_b64 v[18:21], v0 offset0:7 offset1:11
.LBB0_15:
	s_or_b64 exec, exec, s[18:19]
	v_add_f64 v[0:1], v[4:5], -v[12:13]
	v_fma_f64 v[8:9], v[8:9], 2.0, -v[56:57]
	s_waitcnt lgkmcnt(0)
	; wave barrier
	s_waitcnt lgkmcnt(0)
	v_add_f64 v[12:13], v[0:1], -v[54:55]
	v_fma_f64 v[4:5], v[4:5], 2.0, -v[0:1]
	v_fma_f64 v[0:1], v[0:1], 2.0, -v[12:13]
	v_add_f64 v[8:9], v[4:5], -v[8:9]
	v_add_f64 v[54:55], v[12:13], v[94:95]
	v_add_f64 v[56:57], v[0:1], -v[92:93]
	v_add_f64 v[92:93], v[8:9], -v[42:43]
	;; [unrolled: 1-line block ×3, first 2 shown]
	v_fma_f64 v[42:43], v[46:47], 2.0, -v[64:65]
	v_fma_f64 v[4:5], v[4:5], 2.0, -v[8:9]
	;; [unrolled: 1-line block ×3, first 2 shown]
	v_add_f64 v[64:65], v[56:57], -v[88:89]
	v_fma_f64 v[56:57], v[8:9], 2.0, -v[92:93]
	v_fma_f64 v[12:13], v[12:13], 2.0, -v[54:55]
	v_add_f64 v[8:9], v[72:73], v[92:93]
	v_add_f64 v[84:85], v[4:5], -v[42:43]
	v_fma_f64 v[42:43], v[52:53], s[16:17], v[54:55]
	v_add_u32_e32 v88, 0x1000, v102
	v_add_u32_e32 v89, 0x800, v102
	v_fma_f64 v[0:1], v[0:1], 2.0, -v[64:65]
	v_add_f64 v[52:53], v[56:57], -v[70:71]
	v_fma_f64 v[58:59], v[58:59], s[14:15], v[12:13]
	v_fma_f64 v[70:71], v[6:7], s[8:9], v[64:65]
	v_fma_f64 v[72:73], v[4:5], 2.0, -v[84:85]
	v_add_f64 v[4:5], v[8:9], -v[62:63]
	v_fma_f64 v[6:7], v[48:49], s[14:15], v[42:43]
	v_add_f64 v[8:9], v[84:85], -v[38:39]
	v_fma_f64 v[86:87], v[44:45], s[6:7], v[0:1]
	;; [unrolled: 2-line block ×3, first 2 shown]
	v_fma_f64 v[10:11], v[10:11], s[6:7], v[70:71]
	v_add_f64 v[38:39], v[72:73], -v[46:47]
	v_fma_f64 v[46:47], v[92:93], 2.0, -v[4:5]
	v_fma_f64 v[48:49], v[54:55], 2.0, -v[6:7]
	;; [unrolled: 1-line block ×3, first 2 shown]
	v_fma_f64 v[40:41], v[40:41], s[14:15], v[86:87]
	v_fma_f64 v[54:55], v[56:57], 2.0, -v[42:43]
	v_fma_f64 v[56:57], v[12:13], 2.0, -v[44:45]
	;; [unrolled: 1-line block ×5, first 2 shown]
	ds_write_b128 v108, v[4:7] offset:112
	ds_write_b128 v108, v[46:49] offset:48
	;; [unrolled: 1-line block ×7, first 2 shown]
	ds_write_b128 v108, v[58:61]
	s_waitcnt lgkmcnt(0)
	; wave barrier
	s_waitcnt lgkmcnt(0)
	ds_read2st64_b64 v[8:11], v102 offset1:4
	ds_read2_b64 v[54:57], v88 offset1:48
	ds_read2_b64 v[50:53], v89 offset0:48 offset1:96
	ds_read2_b64 v[46:49], v88 offset0:96 offset1:144
	;; [unrolled: 1-line block ×3, first 2 shown]
	ds_read_b64 v[58:59], v104
	ds_read_b64 v[12:13], v105
	;; [unrolled: 1-line block ×4, first 2 shown]
	ds_read_b64 v[84:85], v102 offset:5632
                                        ; implicit-def: $vgpr40_vgpr41
	s_and_saveexec_b64 s[6:7], s[0:1]
	s_cbranch_execz .LBB0_17
; %bb.16:
	v_add_u32_e32 v38, 0x180, v102
	ds_read_b64 v[6:7], v103
	ds_read2st64_b64 v[38:41], v38 offset0:7 offset1:11
.LBB0_17:
	s_or_b64 exec, exec, s[6:7]
	v_and_b32_e32 v86, 15, v97
	v_lshlrev_b32_e32 v60, 5, v86
	global_load_dwordx2 v[112:113], v60, s[12:13]
	v_lshlrev_b32_e32 v60, 5, v97
	v_and_b32_e32 v95, 0x1e0, v60
	global_load_dwordx4 v[87:90], v95, s[12:13]
	global_load_dwordx4 v[91:94], v95, s[12:13] offset:8
	global_load_dwordx4 v[108:111], v95, s[12:13] offset:16
	s_mov_b32 s6, 0xe8584caa
	s_mov_b32 s7, 0xbfebb67a
	;; [unrolled: 1-line block ×4, first 2 shown]
	s_waitcnt vmcnt(2) lgkmcnt(9)
	v_mul_f64 v[60:61], v[10:11], v[89:90]
	v_fma_f64 v[60:61], v[16:17], v[112:113], v[60:61]
	v_mul_f64 v[16:17], v[16:17], v[89:90]
	v_fma_f64 v[10:11], v[10:11], v[112:113], -v[16:17]
	s_waitcnt vmcnt(0) lgkmcnt(8)
	v_mul_f64 v[16:17], v[54:55], v[110:111]
	v_fma_f64 v[62:63], v[34:35], v[93:94], v[16:17]
	v_mul_f64 v[16:17], v[34:35], v[110:111]
	s_waitcnt lgkmcnt(7)
	v_mul_f64 v[34:35], v[50:51], v[89:90]
	v_fma_f64 v[16:17], v[54:55], v[93:94], -v[16:17]
	v_fma_f64 v[64:65], v[30:31], v[112:113], v[34:35]
	v_mul_f64 v[30:31], v[30:31], v[89:90]
	v_fma_f64 v[72:73], v[50:51], v[112:113], -v[30:31]
	v_mul_f64 v[30:31], v[56:57], v[110:111]
	v_fma_f64 v[70:71], v[36:37], v[93:94], v[30:31]
	v_mul_f64 v[30:31], v[36:37], v[110:111]
	v_fma_f64 v[50:51], v[56:57], v[93:94], -v[30:31]
	v_mul_f64 v[30:31], v[52:53], v[89:90]
	v_fma_f64 v[34:35], v[32:33], v[112:113], v[30:31]
	v_mul_f64 v[30:31], v[32:33], v[89:90]
	v_fma_f64 v[32:33], v[52:53], v[112:113], -v[30:31]
	s_waitcnt lgkmcnt(6)
	v_mul_f64 v[30:31], v[46:47], v[110:111]
	v_fma_f64 v[36:37], v[26:27], v[93:94], v[30:31]
	v_mul_f64 v[26:27], v[26:27], v[110:111]
	v_fma_f64 v[30:31], v[46:47], v[93:94], -v[26:27]
	s_waitcnt lgkmcnt(5)
	v_mul_f64 v[26:27], v[42:43], v[89:90]
	v_fma_f64 v[46:47], v[22:23], v[112:113], v[26:27]
	v_mul_f64 v[22:23], v[22:23], v[89:90]
	v_mul_f64 v[26:27], v[44:45], v[89:90]
	v_fma_f64 v[42:43], v[42:43], v[112:113], -v[22:23]
	v_mul_f64 v[22:23], v[48:49], v[110:111]
	v_fma_f64 v[52:53], v[28:29], v[93:94], v[22:23]
	v_mul_f64 v[22:23], v[28:29], v[110:111]
	v_fma_f64 v[22:23], v[48:49], v[93:94], -v[22:23]
	v_fma_f64 v[48:49], v[24:25], v[112:113], v[26:27]
	v_mul_f64 v[24:25], v[24:25], v[89:90]
	v_fma_f64 v[44:45], v[44:45], v[112:113], -v[24:25]
	s_waitcnt lgkmcnt(0)
	v_mul_f64 v[24:25], v[84:85], v[110:111]
	v_fma_f64 v[54:55], v[82:83], v[93:94], v[24:25]
	v_mul_f64 v[24:25], v[82:83], v[110:111]
	v_fma_f64 v[28:29], v[84:85], v[93:94], -v[24:25]
	v_mul_f64 v[24:25], v[38:39], v[91:92]
	v_fma_f64 v[24:25], v[18:19], v[87:88], v[24:25]
	v_mul_f64 v[18:19], v[18:19], v[91:92]
	v_fma_f64 v[26:27], v[38:39], v[87:88], -v[18:19]
	global_load_dwordx2 v[18:19], v95, s[12:13] offset:24
	s_waitcnt lgkmcnt(0)
	; wave barrier
	s_waitcnt vmcnt(0)
	v_mul_f64 v[38:39], v[40:41], v[18:19]
	v_mul_f64 v[18:19], v[20:21], v[18:19]
	v_fma_f64 v[56:57], v[20:21], v[108:109], v[38:39]
	v_add_f64 v[20:21], v[60:61], v[62:63]
	v_fma_f64 v[38:39], v[40:41], v[108:109], -v[18:19]
	v_add_f64 v[18:19], v[14:15], v[60:61]
	v_add_f64 v[40:41], v[64:65], v[70:71]
	v_fma_f64 v[14:15], v[20:21], -0.5, v[14:15]
	v_add_f64 v[20:21], v[10:11], -v[16:17]
	v_add_f64 v[18:19], v[18:19], v[62:63]
	v_fma_f64 v[40:41], v[40:41], -0.5, v[80:81]
	v_fma_f64 v[82:83], v[20:21], s[6:7], v[14:15]
	v_fma_f64 v[14:15], v[20:21], s[8:9], v[14:15]
	v_add_f64 v[20:21], v[80:81], v[64:65]
	v_add_f64 v[80:81], v[72:73], -v[50:51]
	v_add_f64 v[20:21], v[20:21], v[70:71]
	v_fma_f64 v[84:85], v[80:81], s[6:7], v[40:41]
	v_fma_f64 v[80:81], v[80:81], s[8:9], v[40:41]
	v_add_f64 v[40:41], v[78:79], v[34:35]
	v_add_f64 v[87:88], v[40:41], v[36:37]
	v_add_f64 v[40:41], v[34:35], v[36:37]
	v_fma_f64 v[40:41], v[40:41], -0.5, v[78:79]
	v_add_f64 v[78:79], v[32:33], -v[30:31]
	v_fma_f64 v[89:90], v[78:79], s[6:7], v[40:41]
	v_fma_f64 v[78:79], v[78:79], s[8:9], v[40:41]
	v_add_f64 v[40:41], v[76:77], v[46:47]
	v_add_f64 v[91:92], v[40:41], v[52:53]
	v_add_f64 v[40:41], v[46:47], v[52:53]
	v_fma_f64 v[40:41], v[40:41], -0.5, v[76:77]
	v_add_f64 v[76:77], v[42:43], -v[22:23]
	;; [unrolled: 7-line block ×3, first 2 shown]
	v_fma_f64 v[110:111], v[74:75], s[6:7], v[40:41]
	v_fma_f64 v[112:113], v[74:75], s[8:9], v[40:41]
	v_lshrrev_b32_e32 v40, 4, v97
	v_mul_u32_u24_e32 v40, 48, v40
	v_or_b32_e32 v40, v40, v86
	v_lshl_add_u32 v40, v40, 3, 0
	ds_write2_b64 v40, v[18:19], v[82:83] offset1:16
	ds_write_b64 v40, v[14:15] offset:256
	v_lshrrev_b32_e32 v14, 4, v98
	v_mul_lo_u32 v14, v14, 48
	v_or_b32_e32 v14, v14, v86
	v_lshl_add_u32 v41, v14, 3, 0
	v_lshrrev_b32_e32 v14, 4, v99
	v_mul_lo_u32 v14, v14, 48
	ds_write2_b64 v41, v[20:21], v[84:85] offset1:16
	ds_write_b64 v41, v[80:81] offset:256
	v_or_b32_e32 v14, v14, v86
	v_lshl_add_u32 v74, v14, 3, 0
	v_lshrrev_b32_e32 v14, 4, v100
	v_mul_lo_u32 v14, v14, 48
	ds_write2_b64 v74, v[87:88], v[89:90] offset1:16
	ds_write_b64 v74, v[78:79] offset:256
	;; [unrolled: 6-line block ×3, first 2 shown]
	v_lshl_add_u32 v76, v97, 3, 0
	v_or_b32_e32 v14, v14, v86
	v_lshl_add_u32 v77, v14, 3, 0
	ds_write2_b64 v77, v[108:109], v[110:111] offset1:16
	ds_write_b64 v77, v[112:113] offset:256
	s_and_saveexec_b64 s[14:15], s[0:1]
	s_cbranch_execz .LBB0_19
; %bb.18:
	v_add_f64 v[14:15], v[24:25], v[56:57]
	v_add_f64 v[18:19], v[26:27], -v[38:39]
	v_add_f64 v[20:21], v[2:3], v[24:25]
	v_fma_f64 v[2:3], v[14:15], -0.5, v[2:3]
	v_add_f64 v[14:15], v[20:21], v[56:57]
	v_fma_f64 v[20:21], v[18:19], s[6:7], v[2:3]
	v_fma_f64 v[2:3], v[18:19], s[8:9], v[2:3]
	v_add_u32_e32 v18, 0x1000, v76
	ds_write2_b64 v18, v[14:15], v[20:21] offset0:208 offset1:224
	ds_write_b64 v76, v[2:3] offset:6016
.LBB0_19:
	s_or_b64 exec, exec, s[14:15]
	v_add_f64 v[2:3], v[10:11], v[16:17]
	v_add_f64 v[14:15], v[72:73], v[50:51]
	;; [unrolled: 1-line block ×3, first 2 shown]
	v_add_f64 v[18:19], v[60:61], -v[62:63]
	v_add_f64 v[20:21], v[58:59], v[72:73]
	v_add_f64 v[60:61], v[42:43], v[22:23]
	;; [unrolled: 1-line block ×3, first 2 shown]
	s_waitcnt lgkmcnt(0)
	v_fma_f64 v[2:3], v[2:3], -0.5, v[8:9]
	v_add_f64 v[8:9], v[64:65], -v[70:71]
	v_fma_f64 v[14:15], v[14:15], -0.5, v[58:59]
	v_add_f64 v[58:59], v[32:33], v[30:31]
	v_add_f64 v[64:65], v[10:11], v[16:17]
	;; [unrolled: 1-line block ×3, first 2 shown]
	v_add_f64 v[10:11], v[34:35], -v[36:37]
	v_fma_f64 v[0:1], v[62:63], -0.5, v[0:1]
	v_fma_f64 v[70:71], v[18:19], s[8:9], v[2:3]
	v_fma_f64 v[72:73], v[18:19], s[6:7], v[2:3]
	;; [unrolled: 1-line block ×4, first 2 shown]
	v_add_f64 v[2:3], v[12:13], v[32:33]
	v_fma_f64 v[8:9], v[58:59], -0.5, v[12:13]
	v_add_f64 v[12:13], v[4:5], v[42:43]
	v_fma_f64 v[4:5], v[60:61], -0.5, v[4:5]
	v_add_f64 v[14:15], v[46:47], -v[52:53]
	v_add_f64 v[18:19], v[48:49], -v[54:55]
	v_add_f64 v[58:59], v[16:17], v[28:29]
	; wave barrier
	v_add_f64 v[42:43], v[2:3], v[30:31]
	v_add_f64 v[50:51], v[20:21], v[50:51]
	v_fma_f64 v[44:45], v[10:11], s[8:9], v[8:9]
	v_fma_f64 v[46:47], v[10:11], s[6:7], v[8:9]
	;; [unrolled: 1-line block ×4, first 2 shown]
	ds_read_b64 v[28:29], v104
	ds_read_b64 v[36:37], v105
	;; [unrolled: 1-line block ×6, first 2 shown]
	v_add_f64 v[48:49], v[12:13], v[22:23]
	v_fma_f64 v[60:61], v[18:19], s[8:9], v[0:1]
	v_fma_f64 v[62:63], v[18:19], s[6:7], v[0:1]
	v_add_u32_e32 v0, 0x800, v102
	v_add_u32_e32 v8, 0xc00, v102
	;; [unrolled: 1-line block ×3, first 2 shown]
	ds_read2_b64 v[20:23], v0 offset0:32 offset1:80
	ds_read2_b64 v[0:3], v0 offset0:128 offset1:176
	;; [unrolled: 1-line block ×5, first 2 shown]
	s_waitcnt lgkmcnt(0)
	; wave barrier
	s_waitcnt lgkmcnt(0)
	ds_write2_b64 v40, v[64:65], v[70:71] offset1:16
	ds_write_b64 v40, v[72:73] offset:256
	ds_write2_b64 v41, v[50:51], v[78:79] offset1:16
	ds_write_b64 v41, v[80:81] offset:256
	;; [unrolled: 2-line block ×5, first 2 shown]
	s_and_saveexec_b64 s[6:7], s[0:1]
	s_cbranch_execz .LBB0_21
; %bb.20:
	v_add_f64 v[40:41], v[26:27], v[38:39]
	v_add_f64 v[26:27], v[6:7], v[26:27]
	v_add_f64 v[24:25], v[24:25], -v[56:57]
	s_mov_b32 s1, 0x3febb67a
	s_mov_b32 s0, 0xe8584caa
	v_fma_f64 v[6:7], v[40:41], -0.5, v[6:7]
	v_add_f64 v[26:27], v[26:27], v[38:39]
	v_fma_f64 v[38:39], v[24:25], s[0:1], v[6:7]
	s_mov_b32 s1, 0xbfebb67a
	v_fma_f64 v[6:7], v[24:25], s[0:1], v[6:7]
	v_add_u32_e32 v24, 0x1000, v76
	ds_write2_b64 v24, v[26:27], v[38:39] offset0:208 offset1:224
	ds_write_b64 v76, v[6:7] offset:6016
.LBB0_21:
	s_or_b64 exec, exec, s[6:7]
	s_waitcnt lgkmcnt(0)
	; wave barrier
	s_waitcnt lgkmcnt(0)
	s_and_saveexec_b64 s[0:1], vcc
	s_cbranch_execz .LBB0_23
; %bb.22:
	v_mul_u32_u24_e32 v6, 15, v97
	v_lshlrev_b32_e32 v6, 4, v6
	global_load_dwordx4 v[24:27], v6, s[12:13] offset:656
	global_load_dwordx4 v[38:41], v6, s[12:13] offset:592
	;; [unrolled: 1-line block ×15, first 2 shown]
	v_add_u32_e32 v6, 0xc00, v102
	ds_read2_b64 v[108:111], v6 offset0:96 offset1:144
	ds_read_b64 v[94:95], v107
	ds_read_b64 v[106:107], v106
	;; [unrolled: 1-line block ×4, first 2 shown]
	v_add_u32_e32 v126, 0x800, v102
	v_add_u32_e32 v127, 0x1000, v102
	ds_read_b64 v[101:102], v102
	ds_read_b64 v[124:125], v103
	s_mov_b32 s0, 0x667f3bcd
	s_mov_b32 s1, 0x3fe6a09e
	;; [unrolled: 1-line block ×9, first 2 shown]
	s_waitcnt vmcnt(14)
	v_mul_f64 v[6:7], v[16:17], v[26:27]
	s_waitcnt vmcnt(13)
	v_mul_f64 v[114:115], v[20:21], v[38:39]
	;; [unrolled: 2-line block ×3, first 2 shown]
	s_waitcnt lgkmcnt(6)
	v_mul_f64 v[44:45], v[110:111], v[44:45]
	v_mul_f64 v[118:119], v[20:21], v[40:41]
	s_waitcnt vmcnt(11)
	v_mul_f64 v[120:121], v[22:23], v[46:47]
	v_mul_f64 v[26:27], v[108:109], v[26:27]
	;; [unrolled: 1-line block ×3, first 2 shown]
	ds_read2_b64 v[20:23], v126 offset0:32 offset1:80
	v_fma_f64 v[6:7], v[108:109], v[24:25], -v[6:7]
	v_fma_f64 v[110:111], v[110:111], v[42:43], -v[116:117]
	v_fma_f64 v[42:43], v[18:19], v[42:43], v[44:45]
	s_waitcnt vmcnt(10)
	v_mul_f64 v[44:45], v[36:37], v[52:53]
	s_waitcnt lgkmcnt(4)
	v_mul_f64 v[52:53], v[112:113], v[52:53]
	s_waitcnt vmcnt(8)
	v_mul_f64 v[116:117], v[34:35], v[60:61]
	v_mul_f64 v[60:61], v[106:107], v[60:61]
	s_waitcnt lgkmcnt(0)
	v_fma_f64 v[40:41], v[20:21], v[40:41], v[114:115]
	v_fma_f64 v[38:39], v[20:21], v[38:39], -v[118:119]
	v_fma_f64 v[48:49], v[22:23], v[48:49], v[120:121]
	v_mul_f64 v[114:115], v[0:1], v[56:57]
	v_fma_f64 v[44:45], v[112:113], v[50:51], -v[44:45]
	s_waitcnt vmcnt(7)
	v_mul_f64 v[112:113], v[30:31], v[62:63]
	v_fma_f64 v[36:37], v[36:37], v[50:51], v[52:53]
	s_waitcnt vmcnt(6)
	v_mul_f64 v[50:51], v[8:9], v[70:71]
	s_waitcnt vmcnt(5)
	v_mul_f64 v[52:53], v[12:13], v[74:75]
	v_mul_f64 v[12:13], v[12:13], v[76:77]
	v_fma_f64 v[106:107], v[106:107], v[58:59], -v[116:117]
	s_waitcnt vmcnt(4)
	v_mul_f64 v[116:117], v[28:29], v[80:81]
	v_fma_f64 v[34:35], v[34:35], v[58:59], v[60:61]
	s_waitcnt vmcnt(3)
	v_mul_f64 v[58:59], v[2:3], v[84:85]
	s_waitcnt vmcnt(2)
	v_mul_f64 v[60:61], v[32:33], v[86:87]
	;; [unrolled: 2-line block ×4, first 2 shown]
	v_fma_f64 v[108:109], v[16:17], v[24:25], v[26:27]
	ds_read2_b64 v[16:19], v126 offset0:128 offset1:176
	ds_read2_b64 v[24:27], v127 offset0:64 offset1:112
	v_fma_f64 v[46:47], v[22:23], v[46:47], -v[122:123]
	ds_read2_b64 v[20:23], v127 offset0:160 offset1:208
	v_mul_f64 v[14:15], v[14:15], v[92:93]
	v_mul_f64 v[10:11], v[10:11], v[99:100]
	;; [unrolled: 1-line block ×4, first 2 shown]
	s_waitcnt lgkmcnt(0)
	v_fma_f64 v[52:53], v[20:21], v[76:77], v[52:53]
	v_fma_f64 v[12:13], v[20:21], v[74:75], -v[12:13]
	v_mul_f64 v[20:21], v[104:105], v[80:81]
	v_mul_f64 v[74:75], v[18:19], v[84:85]
	;; [unrolled: 1-line block ×3, first 2 shown]
	v_fma_f64 v[76:77], v[104:105], v[78:79], -v[116:117]
	v_mul_f64 v[56:57], v[16:17], v[56:57]
	v_fma_f64 v[16:17], v[16:17], v[54:55], -v[114:115]
	v_fma_f64 v[64:65], v[94:95], v[64:65], v[112:113]
	v_fma_f64 v[50:51], v[24:25], v[72:73], v[50:51]
	v_fma_f64 v[18:19], v[18:19], v[82:83], -v[58:59]
	v_fma_f64 v[58:59], v[124:125], v[88:89], v[60:61]
	v_fma_f64 v[60:61], v[26:27], v[99:100], v[120:121]
	;; [unrolled: 1-line block ×3, first 2 shown]
	v_fma_f64 v[14:15], v[22:23], v[90:91], -v[14:15]
	v_fma_f64 v[20:21], v[28:29], v[78:79], v[20:21]
	v_fma_f64 v[2:3], v[2:3], v[82:83], v[74:75]
	v_fma_f64 v[22:23], v[124:125], v[86:87], -v[32:33]
	v_fma_f64 v[10:11], v[26:27], v[97:98], -v[10:11]
	;; [unrolled: 1-line block ×4, first 2 shown]
	v_add_f64 v[16:17], v[101:102], -v[16:17]
	v_add_f64 v[24:25], v[64:65], -v[50:51]
	;; [unrolled: 1-line block ×16, first 2 shown]
	v_fma_f64 v[0:1], v[0:1], v[54:55], v[56:57]
	v_add_f64 v[54:55], v[20:21], -v[2:3]
	v_add_f64 v[2:3], v[22:23], -v[10:11]
	;; [unrolled: 1-line block ×3, first 2 shown]
	v_add_f64 v[10:11], v[52:53], v[12:13]
	v_add_f64 v[56:57], v[42:43], v[14:15]
	v_fma_f64 v[74:75], v[62:63], s[0:1], v[60:61]
	v_fma_f64 v[78:79], v[72:73], s[0:1], v[70:71]
	v_add_f64 v[0:1], v[4:5], -v[0:1]
	v_fma_f64 v[90:91], v[101:102], 2.0, -v[16:17]
	v_add_f64 v[80:81], v[54:55], v[2:3]
	v_fma_f64 v[28:29], v[40:41], 2.0, -v[28:29]
	v_fma_f64 v[2:3], v[22:23], 2.0, -v[2:3]
	;; [unrolled: 1-line block ×3, first 2 shown]
	v_fma_f64 v[74:75], v[10:11], s[6:7], v[74:75]
	v_fma_f64 v[78:79], v[56:57], s[6:7], v[78:79]
	v_add_f64 v[82:83], v[0:1], v[8:9]
	v_fma_f64 v[8:9], v[26:27], 2.0, -v[8:9]
	v_fma_f64 v[84:85], v[56:57], s[0:1], v[80:81]
	v_fma_f64 v[26:27], v[36:37], 2.0, -v[52:53]
	v_fma_f64 v[36:37], v[76:77], 2.0, -v[18:19]
	;; [unrolled: 1-line block ×3, first 2 shown]
	v_mul_lo_u32 v97, s5, v68
	v_mul_lo_u32 v98, s4, v69
	v_mad_u64_u32 v[68:69], s[4:5], s4, v68, 0
	s_mov_b32 s4, 0xcf328d46
	s_mov_b32 s5, 0x3fed906b
	v_fma_f64 v[86:87], v[78:79], s[4:5], v[74:75]
	v_fma_f64 v[88:89], v[10:11], s[0:1], v[82:83]
	;; [unrolled: 1-line block ×3, first 2 shown]
	v_add_f64 v[50:51], v[90:91], -v[8:9]
	v_fma_f64 v[20:21], v[20:21], 2.0, -v[54:55]
	v_fma_f64 v[8:9], v[58:59], 2.0, -v[30:31]
	;; [unrolled: 1-line block ×8, first 2 shown]
	v_add_f64 v[28:29], v[26:27], -v[28:29]
	v_add_f64 v[76:77], v[36:37], -v[2:3]
	;; [unrolled: 1-line block ×3, first 2 shown]
	v_fma_f64 v[48:49], v[62:63], s[0:1], v[88:89]
	v_fma_f64 v[2:3], v[40:41], s[8:9], v[86:87]
	v_add_f64 v[64:65], v[20:21], -v[8:9]
	v_add_f64 v[84:85], v[30:31], -v[14:15]
	v_add_f64 v[12:13], v[44:45], -v[12:13]
	v_add_f64 v[86:87], v[38:39], -v[4:5]
	v_fma_f64 v[88:89], v[16:17], 2.0, -v[60:61]
	v_fma_f64 v[4:5], v[6:7], 2.0, -v[62:63]
	;; [unrolled: 1-line block ×8, first 2 shown]
	v_add_f64 v[46:47], v[50:51], -v[28:29]
	v_add_f64 v[58:59], v[76:77], -v[34:35]
	v_fma_f64 v[24:25], v[40:41], s[4:5], v[48:49]
	v_add_f64 v[54:55], v[64:65], v[84:85]
	v_add_f64 v[56:57], v[86:87], v[12:13]
	v_fma_f64 v[16:17], v[4:5], s[6:7], v[88:89]
	v_fma_f64 v[18:19], v[10:11], s[6:7], v[52:53]
	;; [unrolled: 1-line block ×6, first 2 shown]
	v_fma_f64 v[90:91], v[90:91], 2.0, -v[50:51]
	v_fma_f64 v[24:25], v[54:55], s[0:1], v[56:57]
	v_fma_f64 v[92:93], v[8:9], s[6:7], v[16:17]
	;; [unrolled: 1-line block ×6, first 2 shown]
	v_fma_f64 v[12:13], v[44:45], 2.0, -v[12:13]
	v_fma_f64 v[44:45], v[20:21], 2.0, -v[64:65]
	;; [unrolled: 1-line block ×3, first 2 shown]
	v_add3_u32 v69, v69, v98, v97
	v_fma_f64 v[4:5], v[58:59], s[0:1], v[24:25]
	v_fma_f64 v[16:17], v[94:95], s[12:13], v[92:93]
	;; [unrolled: 1-line block ×3, first 2 shown]
	v_fma_f64 v[97:98], v[38:39], 2.0, -v[86:87]
	v_fma_f64 v[22:23], v[26:27], 2.0, -v[28:29]
	;; [unrolled: 1-line block ×12, first 2 shown]
	v_add_f64 v[60:61], v[90:91], -v[12:13]
	v_add_f64 v[70:71], v[44:45], -v[20:21]
	s_mov_b32 s14, s4
	v_fma_f64 v[10:11], v[74:75], 2.0, -v[2:3]
	v_fma_f64 v[18:19], v[62:63], s[14:15], v[16:17]
	v_fma_f64 v[16:17], v[94:95], s[4:5], v[24:25]
	v_add_f64 v[74:75], v[97:98], -v[22:23]
	v_add_f64 v[78:79], v[36:37], -v[26:27]
	v_fma_f64 v[12:13], v[56:57], 2.0, -v[4:5]
	v_fma_f64 v[50:51], v[34:35], s[8:9], v[40:41]
	v_fma_f64 v[54:55], v[64:65], 2.0, -v[54:55]
	v_fma_f64 v[56:57], v[86:87], 2.0, -v[56:57]
	v_fma_f64 v[58:59], v[46:47], s[6:7], v[48:49]
	v_fma_f64 v[64:65], v[88:89], 2.0, -v[92:93]
	v_fma_f64 v[52:53], v[52:53], 2.0, -v[94:95]
	v_fma_f64 v[30:31], v[28:29], s[8:9], v[38:39]
	v_add_f64 v[26:27], v[60:61], -v[70:71]
	v_fma_f64 v[20:21], v[72:73], 2.0, -v[16:17]
	v_add_f64 v[24:25], v[74:75], v[78:79]
	v_fma_f64 v[62:63], v[32:33], 2.0, -v[62:63]
	v_fma_f64 v[72:73], v[42:43], 2.0, -v[72:73]
	v_fma_f64 v[28:29], v[28:29], s[4:5], v[50:51]
	v_fma_f64 v[50:51], v[54:55], s[6:7], v[56:57]
	;; [unrolled: 1-line block ×5, first 2 shown]
	v_fma_f64 v[34:35], v[60:61], 2.0, -v[26:27]
	v_fma_f64 v[60:61], v[90:91], 2.0, -v[60:61]
	v_fma_f64 v[76:77], v[36:37], 2.0, -v[78:79]
	v_fma_f64 v[32:33], v[74:75], 2.0, -v[24:25]
	v_fma_f64 v[58:59], v[62:63], s[14:15], v[72:73]
	v_fma_f64 v[74:75], v[97:98], 2.0, -v[74:75]
	v_fma_f64 v[70:71], v[44:45], 2.0, -v[70:71]
	;; [unrolled: 1-line block ×3, first 2 shown]
	v_fma_f64 v[40:41], v[46:47], s[0:1], v[50:51]
	v_fma_f64 v[46:47], v[62:63], s[8:9], v[54:55]
	v_add_f64 v[54:55], v[60:61], -v[76:77]
	v_mad_u64_u32 v[76:77], s[0:1], s2, v96, 0
	v_fma_f64 v[44:45], v[52:53], s[12:13], v[58:59]
	v_add_f64 v[52:53], v[74:75], -v[70:71]
	v_fma_f64 v[50:51], v[48:49], 2.0, -v[42:43]
	v_fma_f64 v[48:49], v[56:57], 2.0, -v[40:41]
	v_mov_b32_e32 v56, v77
	v_fma_f64 v[58:59], v[64:65], 2.0, -v[46:47]
	v_mad_u64_u32 v[64:65], s[0:1], s3, v96, v[56:57]
	v_fma_f64 v[62:63], v[60:61], 2.0, -v[54:55]
	v_fma_f64 v[60:61], v[74:75], 2.0, -v[52:53]
	v_mov_b32_e32 v77, v64
	v_lshlrev_b64 v[64:65], 4, v[68:69]
	v_mov_b32_e32 v68, s11
	v_add_co_u32_e32 v69, vcc, s10, v64
	v_addc_co_u32_e32 v68, vcc, v68, v65, vcc
	v_lshlrev_b64 v[64:65], 4, v[66:67]
	v_add_u32_e32 v70, 48, v96
	v_add_co_u32_e32 v69, vcc, v69, v64
	v_addc_co_u32_e32 v71, vcc, v68, v65, vcc
	v_lshlrev_b64 v[64:65], 4, v[76:77]
	v_mad_u64_u32 v[66:67], s[0:1], s2, v70, 0
	v_add_co_u32_e32 v64, vcc, v69, v64
	v_addc_co_u32_e32 v65, vcc, v71, v65, vcc
	global_store_dwordx4 v[64:65], v[60:63], off
	v_add_u32_e32 v64, 0x60, v96
	v_fma_f64 v[56:57], v[72:73], 2.0, -v[44:45]
	v_mad_u64_u32 v[67:68], s[0:1], s3, v70, v[67:68]
	v_mad_u64_u32 v[62:63], s[0:1], s2, v64, 0
	v_lshlrev_b64 v[60:61], 4, v[66:67]
	v_add_u32_e32 v66, 0x90, v96
	v_mad_u64_u32 v[63:64], s[0:1], s3, v64, v[63:64]
	v_add_co_u32_e32 v60, vcc, v69, v60
	v_addc_co_u32_e32 v61, vcc, v71, v61, vcc
	v_mad_u64_u32 v[64:65], s[0:1], s2, v66, 0
	global_store_dwordx4 v[60:61], v[56:59], off
	v_fma_f64 v[38:39], v[38:39], 2.0, -v[30:31]
	v_lshlrev_b64 v[56:57], 4, v[62:63]
	v_mov_b32_e32 v58, v65
	v_add_co_u32_e32 v56, vcc, v69, v56
	v_addc_co_u32_e32 v57, vcc, v71, v57, vcc
	global_store_dwordx4 v[56:57], v[48:51], off
	v_or_b32_e32 v56, 0xc0, v96
	v_mad_u64_u32 v[58:59], s[0:1], s3, v66, v[58:59]
	v_mad_u64_u32 v[50:51], s[0:1], s2, v56, 0
	v_mov_b32_e32 v65, v58
	v_lshlrev_b64 v[48:49], 4, v[64:65]
	v_mad_u64_u32 v[56:57], s[0:1], s3, v56, v[51:52]
	v_add_co_u32_e32 v48, vcc, v69, v48
	v_add_u32_e32 v59, 0xf0, v96
	v_addc_co_u32_e32 v49, vcc, v71, v49, vcc
	v_mad_u64_u32 v[57:58], s[0:1], s2, v59, 0
	v_mov_b32_e32 v51, v56
	global_store_dwordx4 v[48:49], v[36:39], off
	v_fma_f64 v[22:23], v[92:93], 2.0, -v[18:19]
	v_lshlrev_b64 v[36:37], 4, v[50:51]
	v_mov_b32_e32 v38, v58
	v_add_co_u32_e32 v36, vcc, v69, v36
	v_addc_co_u32_e32 v37, vcc, v71, v37, vcc
	v_mad_u64_u32 v[38:39], s[0:1], s3, v59, v[38:39]
	global_store_dwordx4 v[36:37], v[32:35], off
	v_add_u32_e32 v36, 0x120, v96
	v_mad_u64_u32 v[34:35], s[0:1], s2, v36, 0
	v_mov_b32_e32 v58, v38
	v_lshlrev_b64 v[32:33], 4, v[57:58]
	v_mad_u64_u32 v[35:36], s[0:1], s3, v36, v[35:36]
	v_add_co_u32_e32 v32, vcc, v69, v32
	v_addc_co_u32_e32 v33, vcc, v71, v33, vcc
	v_add_u32_e32 v38, 0x150, v96
	v_mad_u64_u32 v[36:37], s[0:1], s2, v38, 0
	global_store_dwordx4 v[32:33], v[20:23], off
	s_nop 0
	v_lshlrev_b64 v[20:21], 4, v[34:35]
	v_mov_b32_e32 v22, v37
	v_add_co_u32_e32 v20, vcc, v69, v20
	v_addc_co_u32_e32 v21, vcc, v71, v21, vcc
	global_store_dwordx4 v[20:21], v[12:15], off
	v_or_b32_e32 v20, 0x180, v96
	v_mad_u64_u32 v[22:23], s[0:1], s3, v38, v[22:23]
	v_mad_u64_u32 v[14:15], s[0:1], s2, v20, 0
	v_mov_b32_e32 v37, v22
	v_add_u32_e32 v23, 0x1b0, v96
	v_mad_u64_u32 v[20:21], s[0:1], s3, v20, v[15:16]
	v_lshlrev_b64 v[12:13], 4, v[36:37]
	v_mad_u64_u32 v[21:22], s[0:1], s2, v23, 0
	v_add_co_u32_e32 v12, vcc, v69, v12
	v_addc_co_u32_e32 v13, vcc, v71, v13, vcc
	global_store_dwordx4 v[12:13], v[8:11], off
	v_add_u32_e32 v12, 0x1e0, v96
	v_mov_b32_e32 v10, v22
	v_mad_u64_u32 v[10:11], s[0:1], s3, v23, v[10:11]
	v_mov_b32_e32 v15, v20
	v_lshlrev_b64 v[8:9], 4, v[14:15]
	v_mov_b32_e32 v22, v10
	v_mad_u64_u32 v[10:11], s[0:1], s2, v12, 0
	v_add_co_u32_e32 v8, vcc, v69, v8
	v_addc_co_u32_e32 v9, vcc, v71, v9, vcc
	v_mad_u64_u32 v[11:12], s[0:1], s3, v12, v[11:12]
	v_add_u32_e32 v14, 0x210, v96
	global_store_dwordx4 v[8:9], v[52:55], off
	v_lshlrev_b64 v[8:9], 4, v[21:22]
	v_mad_u64_u32 v[12:13], s[0:1], s2, v14, 0
	v_add_co_u32_e32 v8, vcc, v69, v8
	v_addc_co_u32_e32 v9, vcc, v71, v9, vcc
	global_store_dwordx4 v[8:9], v[44:47], off
	v_lshlrev_b64 v[8:9], 4, v[10:11]
	v_mov_b32_e32 v10, v13
	v_mad_u64_u32 v[10:11], s[0:1], s3, v14, v[10:11]
	v_add_co_u32_e32 v8, vcc, v69, v8
	v_addc_co_u32_e32 v9, vcc, v71, v9, vcc
	v_mov_b32_e32 v13, v10
	global_store_dwordx4 v[8:9], v[40:43], off
	v_lshlrev_b64 v[8:9], 4, v[12:13]
	v_or_b32_e32 v12, 0x240, v96
	v_mad_u64_u32 v[10:11], s[0:1], s2, v12, 0
	v_add_u32_e32 v14, 0x270, v96
	v_add_co_u32_e32 v8, vcc, v69, v8
	v_mad_u64_u32 v[11:12], s[0:1], s3, v12, v[11:12]
	v_mad_u64_u32 v[12:13], s[0:1], s2, v14, 0
	v_addc_co_u32_e32 v9, vcc, v71, v9, vcc
	global_store_dwordx4 v[8:9], v[28:31], off
	v_lshlrev_b64 v[8:9], 4, v[10:11]
	v_mov_b32_e32 v10, v13
	v_mad_u64_u32 v[10:11], s[0:1], s3, v14, v[10:11]
	v_add_co_u32_e32 v8, vcc, v69, v8
	v_addc_co_u32_e32 v9, vcc, v71, v9, vcc
	v_mov_b32_e32 v13, v10
	global_store_dwordx4 v[8:9], v[24:27], off
	v_lshlrev_b64 v[8:9], 4, v[12:13]
	v_add_u32_e32 v12, 0x2a0, v96
	v_mad_u64_u32 v[10:11], s[0:1], s2, v12, 0
	v_add_u32_e32 v14, 0x2d0, v96
	v_add_co_u32_e32 v8, vcc, v69, v8
	v_mad_u64_u32 v[11:12], s[0:1], s3, v12, v[11:12]
	v_mad_u64_u32 v[12:13], s[0:1], s2, v14, 0
	v_addc_co_u32_e32 v9, vcc, v71, v9, vcc
	global_store_dwordx4 v[8:9], v[16:19], off
	v_lshlrev_b64 v[8:9], 4, v[10:11]
	v_mov_b32_e32 v10, v13
	v_mad_u64_u32 v[10:11], s[0:1], s3, v14, v[10:11]
	v_add_co_u32_e32 v8, vcc, v69, v8
	v_addc_co_u32_e32 v9, vcc, v71, v9, vcc
	v_mov_b32_e32 v13, v10
	global_store_dwordx4 v[8:9], v[4:7], off
	s_nop 0
	v_lshlrev_b64 v[4:5], 4, v[12:13]
	v_add_co_u32_e32 v4, vcc, v69, v4
	v_addc_co_u32_e32 v5, vcc, v71, v5, vcc
	global_store_dwordx4 v[4:5], v[0:3], off
.LBB0_23:
	s_endpgm
	.section	.rodata,"a",@progbits
	.p2align	6, 0x0
	.amdhsa_kernel fft_rtc_back_len768_factors_16_3_16_wgs_48_tpt_48_halfLds_dp_op_CI_CI_sbrr_dirReg
		.amdhsa_group_segment_fixed_size 0
		.amdhsa_private_segment_fixed_size 0
		.amdhsa_kernarg_size 104
		.amdhsa_user_sgpr_count 6
		.amdhsa_user_sgpr_private_segment_buffer 1
		.amdhsa_user_sgpr_dispatch_ptr 0
		.amdhsa_user_sgpr_queue_ptr 0
		.amdhsa_user_sgpr_kernarg_segment_ptr 1
		.amdhsa_user_sgpr_dispatch_id 0
		.amdhsa_user_sgpr_flat_scratch_init 0
		.amdhsa_user_sgpr_private_segment_size 0
		.amdhsa_uses_dynamic_stack 0
		.amdhsa_system_sgpr_private_segment_wavefront_offset 0
		.amdhsa_system_sgpr_workgroup_id_x 1
		.amdhsa_system_sgpr_workgroup_id_y 0
		.amdhsa_system_sgpr_workgroup_id_z 0
		.amdhsa_system_sgpr_workgroup_info 0
		.amdhsa_system_vgpr_workitem_id 0
		.amdhsa_next_free_vgpr 128
		.amdhsa_next_free_sgpr 32
		.amdhsa_reserve_vcc 1
		.amdhsa_reserve_flat_scratch 0
		.amdhsa_float_round_mode_32 0
		.amdhsa_float_round_mode_16_64 0
		.amdhsa_float_denorm_mode_32 3
		.amdhsa_float_denorm_mode_16_64 3
		.amdhsa_dx10_clamp 1
		.amdhsa_ieee_mode 1
		.amdhsa_fp16_overflow 0
		.amdhsa_exception_fp_ieee_invalid_op 0
		.amdhsa_exception_fp_denorm_src 0
		.amdhsa_exception_fp_ieee_div_zero 0
		.amdhsa_exception_fp_ieee_overflow 0
		.amdhsa_exception_fp_ieee_underflow 0
		.amdhsa_exception_fp_ieee_inexact 0
		.amdhsa_exception_int_div_zero 0
	.end_amdhsa_kernel
	.text
.Lfunc_end0:
	.size	fft_rtc_back_len768_factors_16_3_16_wgs_48_tpt_48_halfLds_dp_op_CI_CI_sbrr_dirReg, .Lfunc_end0-fft_rtc_back_len768_factors_16_3_16_wgs_48_tpt_48_halfLds_dp_op_CI_CI_sbrr_dirReg
                                        ; -- End function
	.section	.AMDGPU.csdata,"",@progbits
; Kernel info:
; codeLenInByte = 8860
; NumSgprs: 36
; NumVgprs: 128
; ScratchSize: 0
; MemoryBound: 1
; FloatMode: 240
; IeeeMode: 1
; LDSByteSize: 0 bytes/workgroup (compile time only)
; SGPRBlocks: 4
; VGPRBlocks: 31
; NumSGPRsForWavesPerEU: 36
; NumVGPRsForWavesPerEU: 128
; Occupancy: 2
; WaveLimiterHint : 1
; COMPUTE_PGM_RSRC2:SCRATCH_EN: 0
; COMPUTE_PGM_RSRC2:USER_SGPR: 6
; COMPUTE_PGM_RSRC2:TRAP_HANDLER: 0
; COMPUTE_PGM_RSRC2:TGID_X_EN: 1
; COMPUTE_PGM_RSRC2:TGID_Y_EN: 0
; COMPUTE_PGM_RSRC2:TGID_Z_EN: 0
; COMPUTE_PGM_RSRC2:TIDIG_COMP_CNT: 0
	.type	__hip_cuid_6ab461a04b9e13a8,@object ; @__hip_cuid_6ab461a04b9e13a8
	.section	.bss,"aw",@nobits
	.globl	__hip_cuid_6ab461a04b9e13a8
__hip_cuid_6ab461a04b9e13a8:
	.byte	0                               ; 0x0
	.size	__hip_cuid_6ab461a04b9e13a8, 1

	.ident	"AMD clang version 19.0.0git (https://github.com/RadeonOpenCompute/llvm-project roc-6.4.0 25133 c7fe45cf4b819c5991fe208aaa96edf142730f1d)"
	.section	".note.GNU-stack","",@progbits
	.addrsig
	.addrsig_sym __hip_cuid_6ab461a04b9e13a8
	.amdgpu_metadata
---
amdhsa.kernels:
  - .args:
      - .actual_access:  read_only
        .address_space:  global
        .offset:         0
        .size:           8
        .value_kind:     global_buffer
      - .offset:         8
        .size:           8
        .value_kind:     by_value
      - .actual_access:  read_only
        .address_space:  global
        .offset:         16
        .size:           8
        .value_kind:     global_buffer
      - .actual_access:  read_only
        .address_space:  global
        .offset:         24
        .size:           8
        .value_kind:     global_buffer
      - .actual_access:  read_only
        .address_space:  global
        .offset:         32
        .size:           8
        .value_kind:     global_buffer
      - .offset:         40
        .size:           8
        .value_kind:     by_value
      - .actual_access:  read_only
        .address_space:  global
        .offset:         48
        .size:           8
        .value_kind:     global_buffer
      - .actual_access:  read_only
        .address_space:  global
        .offset:         56
        .size:           8
        .value_kind:     global_buffer
      - .offset:         64
        .size:           4
        .value_kind:     by_value
      - .actual_access:  read_only
        .address_space:  global
        .offset:         72
        .size:           8
        .value_kind:     global_buffer
      - .actual_access:  read_only
        .address_space:  global
        .offset:         80
        .size:           8
        .value_kind:     global_buffer
      - .actual_access:  read_only
        .address_space:  global
        .offset:         88
        .size:           8
        .value_kind:     global_buffer
      - .actual_access:  write_only
        .address_space:  global
        .offset:         96
        .size:           8
        .value_kind:     global_buffer
    .group_segment_fixed_size: 0
    .kernarg_segment_align: 8
    .kernarg_segment_size: 104
    .language:       OpenCL C
    .language_version:
      - 2
      - 0
    .max_flat_workgroup_size: 48
    .name:           fft_rtc_back_len768_factors_16_3_16_wgs_48_tpt_48_halfLds_dp_op_CI_CI_sbrr_dirReg
    .private_segment_fixed_size: 0
    .sgpr_count:     36
    .sgpr_spill_count: 0
    .symbol:         fft_rtc_back_len768_factors_16_3_16_wgs_48_tpt_48_halfLds_dp_op_CI_CI_sbrr_dirReg.kd
    .uniform_work_group_size: 1
    .uses_dynamic_stack: false
    .vgpr_count:     128
    .vgpr_spill_count: 0
    .wavefront_size: 64
amdhsa.target:   amdgcn-amd-amdhsa--gfx906
amdhsa.version:
  - 1
  - 2
...

	.end_amdgpu_metadata
